;; amdgpu-corpus repo=ROCm/rocFFT kind=compiled arch=gfx1030 opt=O3
	.text
	.amdgcn_target "amdgcn-amd-amdhsa--gfx1030"
	.amdhsa_code_object_version 6
	.protected	fft_rtc_back_len160_factors_4_10_4_wgs_192_tpt_16_dp_ip_CI_sbcc ; -- Begin function fft_rtc_back_len160_factors_4_10_4_wgs_192_tpt_16_dp_ip_CI_sbcc
	.globl	fft_rtc_back_len160_factors_4_10_4_wgs_192_tpt_16_dp_ip_CI_sbcc
	.p2align	8
	.type	fft_rtc_back_len160_factors_4_10_4_wgs_192_tpt_16_dp_ip_CI_sbcc,@function
fft_rtc_back_len160_factors_4_10_4_wgs_192_tpt_16_dp_ip_CI_sbcc: ; @fft_rtc_back_len160_factors_4_10_4_wgs_192_tpt_16_dp_ip_CI_sbcc
; %bb.0:
	s_load_dwordx4 s[0:3], s[4:5], 0x18
	s_mov_b64 s[20:21], 0
	s_waitcnt lgkmcnt(0)
	s_load_dwordx2 s[14:15], s[0:1], 0x8
	s_waitcnt lgkmcnt(0)
	s_add_u32 s7, s14, -1
	s_addc_u32 s8, s15, -1
	s_add_u32 s9, 0, 0x55540000
	s_addc_u32 s10, 0, 0x55
	s_mul_hi_u32 s12, s9, -12
	s_add_i32 s10, s10, 0x15555500
	s_sub_i32 s12, s12, s9
	s_mul_i32 s16, s10, -12
	s_mul_i32 s11, s9, -12
	s_add_i32 s12, s12, s16
	s_mul_hi_u32 s13, s9, s11
	s_mul_i32 s18, s9, s12
	s_mul_hi_u32 s16, s9, s12
	s_mul_hi_u32 s17, s10, s11
	s_mul_i32 s11, s10, s11
	s_add_u32 s13, s13, s18
	s_addc_u32 s16, 0, s16
	s_mul_hi_u32 s19, s10, s12
	s_add_u32 s11, s13, s11
	s_mul_i32 s12, s10, s12
	s_addc_u32 s11, s16, s17
	s_addc_u32 s13, s19, 0
	s_add_u32 s11, s11, s12
	v_add_co_u32 v1, s9, s9, s11
	s_addc_u32 s11, 0, s13
	s_cmp_lg_u32 s9, 0
	s_addc_u32 s9, s10, s11
	v_readfirstlane_b32 s10, v1
	s_mul_i32 s12, s7, s9
	s_mul_hi_u32 s11, s7, s9
	s_mul_hi_u32 s13, s8, s9
	s_mul_i32 s9, s8, s9
	s_mul_hi_u32 s16, s7, s10
	s_mul_hi_u32 s17, s8, s10
	s_mul_i32 s10, s8, s10
	s_add_u32 s12, s16, s12
	s_addc_u32 s11, 0, s11
	s_add_u32 s10, s12, s10
	s_addc_u32 s10, s11, s17
	s_addc_u32 s11, s13, 0
	s_add_u32 s9, s10, s9
	s_addc_u32 s10, 0, s11
	s_mul_i32 s12, s9, 12
	s_add_u32 s11, s9, 1
	v_sub_co_u32 v1, s7, s7, s12
	s_mul_hi_u32 s12, s9, 12
	s_addc_u32 s13, s10, 0
	s_mul_i32 s16, s10, 12
	v_sub_co_u32 v2, s17, v1, 12
	s_add_u32 s18, s9, 2
	s_addc_u32 s19, s10, 0
	s_add_i32 s12, s12, s16
	s_cmp_lg_u32 s7, 0
	v_readfirstlane_b32 s7, v2
	s_subb_u32 s8, s8, s12
	s_cmp_lg_u32 s17, 0
	s_subb_u32 s12, s8, 0
	s_cmp_gt_u32 s7, 11
	s_cselect_b32 s7, -1, 0
	s_cmp_eq_u32 s12, 0
	v_readfirstlane_b32 s12, v1
	s_cselect_b32 s7, s7, -1
	s_cmp_lg_u32 s7, 0
	s_cselect_b32 s11, s18, s11
	s_cselect_b32 s13, s19, s13
	s_cmp_gt_u32 s12, 11
	s_cselect_b32 s7, -1, 0
	s_cmp_eq_u32 s8, 0
	s_cselect_b32 s7, s7, -1
	s_cmp_lg_u32 s7, 0
	s_mov_b32 s7, 0
	s_cselect_b32 s8, s11, s9
	s_cselect_b32 s9, s13, s10
	s_add_u32 s16, s8, 1
	s_addc_u32 s17, s9, 0
	v_cmp_lt_u64_e64 s8, s[6:7], s[16:17]
	s_and_b32 vcc_lo, exec_lo, s8
	s_cbranch_vccnz .LBB0_2
; %bb.1:
	v_cvt_f32_u32_e32 v1, s16
	s_sub_i32 s9, 0, s16
	s_mov_b32 s21, s7
	v_rcp_iflag_f32_e32 v1, v1
	v_mul_f32_e32 v1, 0x4f7ffffe, v1
	v_cvt_u32_f32_e32 v1, v1
	v_readfirstlane_b32 s8, v1
	s_mul_i32 s9, s9, s8
	s_mul_hi_u32 s9, s8, s9
	s_add_i32 s8, s8, s9
	s_mul_hi_u32 s8, s6, s8
	s_mul_i32 s9, s8, s16
	s_add_i32 s10, s8, 1
	s_sub_i32 s9, s6, s9
	s_sub_i32 s11, s9, s16
	s_cmp_ge_u32 s9, s16
	s_cselect_b32 s8, s10, s8
	s_cselect_b32 s9, s11, s9
	s_add_i32 s10, s8, 1
	s_cmp_ge_u32 s9, s16
	s_cselect_b32 s20, s10, s8
.LBB0_2:
	s_load_dwordx4 s[8:11], s[2:3], 0x0
	s_clause 0x2
	s_load_dwordx2 s[18:19], s[4:5], 0x10
	s_load_dwordx2 s[12:13], s[4:5], 0x58
	;; [unrolled: 1-line block ×3, first 2 shown]
	s_mul_i32 s22, s20, s17
	s_mul_hi_u32 s23, s20, s16
	s_mul_i32 s24, s20, s16
	s_add_i32 s23, s23, s22
	s_sub_u32 s34, s6, s24
	s_subb_u32 s22, 0, s23
	s_mul_hi_u32 s33, s34, 12
	s_mul_i32 s22, s22, 12
	s_mul_i32 s34, s34, 12
	s_add_i32 s33, s33, s22
	s_waitcnt lgkmcnt(0)
	s_mul_i32 s22, s10, s33
	v_cmp_lt_u64_e64 s24, s[18:19], 3
	s_mul_hi_u32 s23, s10, s34
	s_mul_i32 s36, s10, s34
	s_add_i32 s22, s23, s22
	s_mul_i32 s23, s11, s34
	s_add_i32 s35, s22, s23
	s_and_b32 vcc_lo, exec_lo, s24
	s_cbranch_vccnz .LBB0_12
; %bb.3:
	s_add_u32 s22, s2, 16
	s_addc_u32 s23, s3, 0
	s_add_u32 s0, s0, 16
	s_addc_u32 s1, s1, 0
	s_mov_b64 s[24:25], 2
	s_mov_b32 s26, 0
.LBB0_4:                                ; =>This Inner Loop Header: Depth=1
	s_load_dwordx2 s[28:29], s[0:1], 0x0
	s_waitcnt lgkmcnt(0)
	s_or_b64 s[30:31], s[20:21], s[28:29]
	s_mov_b32 s27, s31
                                        ; implicit-def: $sgpr30_sgpr31
	s_cmp_lg_u64 s[26:27], 0
	s_mov_b32 s27, -1
	s_cbranch_scc0 .LBB0_6
; %bb.5:                                ;   in Loop: Header=BB0_4 Depth=1
	v_cvt_f32_u32_e32 v1, s28
	v_cvt_f32_u32_e32 v2, s29
	s_sub_u32 s31, 0, s28
	s_subb_u32 s37, 0, s29
	v_fmac_f32_e32 v1, 0x4f800000, v2
	v_rcp_f32_e32 v1, v1
	v_mul_f32_e32 v1, 0x5f7ffffc, v1
	v_mul_f32_e32 v2, 0x2f800000, v1
	v_trunc_f32_e32 v2, v2
	v_fmac_f32_e32 v1, 0xcf800000, v2
	v_cvt_u32_f32_e32 v2, v2
	v_cvt_u32_f32_e32 v1, v1
	v_readfirstlane_b32 s27, v2
	v_readfirstlane_b32 s30, v1
	s_mul_i32 s38, s31, s27
	s_mul_hi_u32 s40, s31, s30
	s_mul_i32 s39, s37, s30
	s_add_i32 s38, s40, s38
	s_mul_i32 s41, s31, s30
	s_add_i32 s38, s38, s39
	s_mul_hi_u32 s40, s30, s41
	s_mul_hi_u32 s42, s27, s41
	s_mul_i32 s39, s27, s41
	s_mul_hi_u32 s41, s30, s38
	s_mul_i32 s30, s30, s38
	s_mul_hi_u32 s43, s27, s38
	s_add_u32 s30, s40, s30
	s_addc_u32 s40, 0, s41
	s_add_u32 s30, s30, s39
	s_mul_i32 s38, s27, s38
	s_addc_u32 s30, s40, s42
	s_addc_u32 s39, s43, 0
	s_add_u32 s30, s30, s38
	s_addc_u32 s38, 0, s39
	v_add_co_u32 v1, s30, v1, s30
	s_cmp_lg_u32 s30, 0
	s_addc_u32 s27, s27, s38
	v_readfirstlane_b32 s30, v1
	s_mul_i32 s38, s31, s27
	s_mul_hi_u32 s39, s31, s30
	s_mul_i32 s37, s37, s30
	s_add_i32 s38, s39, s38
	s_mul_i32 s31, s31, s30
	s_add_i32 s38, s38, s37
	s_mul_hi_u32 s39, s27, s31
	s_mul_i32 s40, s27, s31
	s_mul_hi_u32 s31, s30, s31
	s_mul_hi_u32 s41, s30, s38
	s_mul_i32 s30, s30, s38
	s_mul_hi_u32 s37, s27, s38
	s_add_u32 s30, s31, s30
	s_addc_u32 s31, 0, s41
	s_add_u32 s30, s30, s40
	s_mul_i32 s38, s27, s38
	s_addc_u32 s30, s31, s39
	s_addc_u32 s31, s37, 0
	s_add_u32 s30, s30, s38
	s_addc_u32 s31, 0, s31
	v_add_co_u32 v1, s30, v1, s30
	s_cmp_lg_u32 s30, 0
	s_addc_u32 s27, s27, s31
	v_readfirstlane_b32 s30, v1
	s_mul_i32 s37, s20, s27
	s_mul_hi_u32 s31, s20, s27
	s_mul_hi_u32 s38, s21, s27
	s_mul_i32 s27, s21, s27
	s_mul_hi_u32 s39, s20, s30
	s_mul_hi_u32 s40, s21, s30
	s_mul_i32 s30, s21, s30
	s_add_u32 s37, s39, s37
	s_addc_u32 s31, 0, s31
	s_add_u32 s30, s37, s30
	s_addc_u32 s30, s31, s40
	s_addc_u32 s31, s38, 0
	s_add_u32 s30, s30, s27
	s_addc_u32 s31, 0, s31
	s_mul_hi_u32 s27, s28, s30
	s_mul_i32 s38, s28, s31
	s_mul_i32 s39, s28, s30
	s_add_i32 s27, s27, s38
	v_sub_co_u32 v1, s38, s20, s39
	s_mul_i32 s37, s29, s30
	s_add_i32 s27, s27, s37
	v_sub_co_u32 v2, s39, v1, s28
	s_sub_i32 s37, s21, s27
	s_cmp_lg_u32 s38, 0
	s_subb_u32 s37, s37, s29
	s_cmp_lg_u32 s39, 0
	v_readfirstlane_b32 s39, v2
	s_subb_u32 s37, s37, 0
	s_cmp_ge_u32 s37, s29
	s_cselect_b32 s40, -1, 0
	s_cmp_ge_u32 s39, s28
	s_cselect_b32 s39, -1, 0
	s_cmp_eq_u32 s37, s29
	s_cselect_b32 s37, s39, s40
	s_add_u32 s39, s30, 1
	s_addc_u32 s40, s31, 0
	s_add_u32 s41, s30, 2
	s_addc_u32 s42, s31, 0
	s_cmp_lg_u32 s37, 0
	s_cselect_b32 s37, s41, s39
	s_cselect_b32 s39, s42, s40
	s_cmp_lg_u32 s38, 0
	v_readfirstlane_b32 s38, v1
	s_subb_u32 s27, s21, s27
	s_cmp_ge_u32 s27, s29
	s_cselect_b32 s40, -1, 0
	s_cmp_ge_u32 s38, s28
	s_cselect_b32 s38, -1, 0
	s_cmp_eq_u32 s27, s29
	s_cselect_b32 s27, s38, s40
	s_cmp_lg_u32 s27, 0
	s_mov_b32 s27, 0
	s_cselect_b32 s31, s39, s31
	s_cselect_b32 s30, s37, s30
.LBB0_6:                                ;   in Loop: Header=BB0_4 Depth=1
	s_andn2_b32 vcc_lo, exec_lo, s27
	s_cbranch_vccnz .LBB0_8
; %bb.7:                                ;   in Loop: Header=BB0_4 Depth=1
	v_cvt_f32_u32_e32 v1, s28
	s_sub_i32 s30, 0, s28
	v_rcp_iflag_f32_e32 v1, v1
	v_mul_f32_e32 v1, 0x4f7ffffe, v1
	v_cvt_u32_f32_e32 v1, v1
	v_readfirstlane_b32 s27, v1
	s_mul_i32 s30, s30, s27
	s_mul_hi_u32 s30, s27, s30
	s_add_i32 s27, s27, s30
	s_mul_hi_u32 s27, s20, s27
	s_mul_i32 s30, s27, s28
	s_add_i32 s31, s27, 1
	s_sub_i32 s30, s20, s30
	s_sub_i32 s37, s30, s28
	s_cmp_ge_u32 s30, s28
	s_cselect_b32 s27, s31, s27
	s_cselect_b32 s30, s37, s30
	s_add_i32 s31, s27, 1
	s_cmp_ge_u32 s30, s28
	s_cselect_b32 s30, s31, s27
	s_mov_b32 s31, s26
.LBB0_8:                                ;   in Loop: Header=BB0_4 Depth=1
	s_load_dwordx2 s[38:39], s[22:23], 0x0
	s_mul_i32 s17, s28, s17
	s_mul_hi_u32 s27, s28, s16
	s_mul_i32 s37, s29, s16
	s_mul_i32 s29, s30, s29
	s_mul_hi_u32 s40, s30, s28
	s_mul_i32 s41, s31, s28
	s_add_i32 s17, s27, s17
	s_add_i32 s27, s40, s29
	s_mul_i32 s42, s30, s28
	s_add_i32 s17, s17, s37
	s_add_i32 s27, s27, s41
	s_sub_u32 s20, s20, s42
	s_subb_u32 s21, s21, s27
	s_mul_i32 s16, s28, s16
	s_waitcnt lgkmcnt(0)
	s_mul_i32 s21, s38, s21
	s_mul_hi_u32 s27, s38, s20
	s_add_i32 s21, s27, s21
	s_mul_i32 s27, s39, s20
	s_mul_i32 s20, s38, s20
	s_add_i32 s21, s21, s27
	s_add_u32 s36, s20, s36
	s_addc_u32 s35, s21, s35
	s_add_u32 s24, s24, 1
	s_addc_u32 s25, s25, 0
	s_add_u32 s22, s22, 8
	v_cmp_ge_u64_e64 s20, s[24:25], s[18:19]
	s_addc_u32 s23, s23, 0
	s_add_u32 s0, s0, 8
	s_addc_u32 s1, s1, 0
	s_and_b32 vcc_lo, exec_lo, s20
	s_cbranch_vccnz .LBB0_10
; %bb.9:                                ;   in Loop: Header=BB0_4 Depth=1
	s_mov_b64 s[20:21], s[30:31]
	s_branch .LBB0_4
.LBB0_10:
	v_cmp_lt_u64_e64 s0, s[6:7], s[16:17]
	s_mov_b64 s[20:21], 0
	s_and_b32 vcc_lo, exec_lo, s0
	s_cbranch_vccnz .LBB0_12
; %bb.11:
	v_cvt_f32_u32_e32 v1, s16
	s_sub_i32 s1, 0, s16
	v_rcp_iflag_f32_e32 v1, v1
	v_mul_f32_e32 v1, 0x4f7ffffe, v1
	v_cvt_u32_f32_e32 v1, v1
	v_readfirstlane_b32 s0, v1
	s_mul_i32 s1, s1, s0
	s_mul_hi_u32 s1, s0, s1
	s_add_i32 s0, s0, s1
	s_mul_hi_u32 s0, s6, s0
	s_mul_i32 s1, s0, s16
	s_sub_i32 s1, s6, s1
	s_add_i32 s6, s0, 1
	s_sub_i32 s7, s1, s16
	s_cmp_ge_u32 s1, s16
	s_cselect_b32 s0, s6, s0
	s_cselect_b32 s1, s7, s1
	s_add_i32 s6, s0, 1
	s_cmp_ge_u32 s1, s16
	s_cselect_b32 s20, s6, s0
.LBB0_12:
	s_lshl_b64 s[0:1], s[18:19], 3
	v_mul_u32_u24_e32 v1, 0x1556, v0
	s_add_u32 s0, s2, s0
	s_addc_u32 s1, s3, s1
	s_load_dwordx2 s[0:1], s[0:1], 0x0
	v_lshrrev_b32_e32 v57, 16, v1
	v_mul_lo_u16 v1, v57, 12
	v_lshlrev_b32_e32 v59, 4, v57
	v_add_nc_u32_e32 v58, 16, v57
	v_or_b32_e32 v56, 32, v57
	v_add_nc_u32_e32 v55, 48, v57
	v_sub_nc_u16 v1, v0, v1
	v_or_b32_e32 v54, 64, v57
	v_add_nc_u32_e32 v53, 0x50, v57
	v_or_b32_e32 v52, 0x60, v57
	v_add_nc_u32_e32 v50, 0x70, v57
	v_and_b32_e32 v60, 0xffff, v1
	v_or_b32_e32 v51, 0x80, v57
	v_add_nc_u32_e32 v49, 0x90, v57
	s_waitcnt lgkmcnt(0)
	s_mul_i32 s1, s1, s20
	s_mul_hi_u32 s2, s0, s20
	s_mul_i32 s0, s0, s20
	v_add_co_u32 v1, s3, s34, v60
	s_add_i32 s1, s2, s1
	v_add_co_ci_u32_e64 v2, null, s33, 0, s3
	s_add_u32 s2, s0, s36
	s_addc_u32 s3, s1, s35
	s_add_u32 s0, s34, 12
	s_addc_u32 s1, s33, 0
	v_cmp_gt_u64_e32 vcc_lo, s[14:15], v[1:2]
	v_cmp_le_u64_e64 s0, s[0:1], s[14:15]
	v_mul_u32_u24_e32 v61, 0xa00, v60
	s_or_b32 s26, s0, vcc_lo
	s_and_saveexec_b32 s0, s26
	s_cbranch_execz .LBB0_14
; %bb.13:
	v_mad_u64_u32 v[1:2], null, s10, v60, 0
	v_mad_u64_u32 v[3:4], null, s8, v57, 0
	;; [unrolled: 1-line block ×4, first 2 shown]
	s_lshl_b64 s[6:7], s[2:3], 4
	v_mad_u64_u32 v[17:18], null, s8, v54, 0
	v_mad_u64_u32 v[9:10], null, s11, v60, v[2:3]
	v_mov_b32_e32 v2, v6
	v_mad_u64_u32 v[10:11], null, s9, v57, v[4:5]
	v_mad_u64_u32 v[11:12], null, s8, v55, 0
	;; [unrolled: 1-line block ×3, first 2 shown]
	v_mov_b32_e32 v2, v9
	s_add_u32 s1, s12, s6
	v_mov_b32_e32 v4, v10
	s_addc_u32 s6, s13, s7
	v_mov_b32_e32 v9, v12
	v_lshlrev_b64 v[1:2], 4, v[1:2]
	v_mad_u64_u32 v[19:20], null, s8, v53, 0
	v_lshlrev_b64 v[3:4], 4, v[3:4]
	v_mad_u64_u32 v[21:22], null, s8, v52, 0
	v_add_co_u32 v39, vcc_lo, s1, v1
	v_add_co_ci_u32_e32 v40, vcc_lo, s6, v2, vcc_lo
	v_mad_u64_u32 v[1:2], null, s9, v56, v[8:9]
	v_mad_u64_u32 v[9:10], null, s9, v55, v[9:10]
	v_add_co_u32 v2, vcc_lo, v39, v3
	v_mov_b32_e32 v6, v13
	v_add_co_ci_u32_e32 v3, vcc_lo, v40, v4, vcc_lo
	v_mov_b32_e32 v8, v1
	v_mov_b32_e32 v12, v9
	;; [unrolled: 1-line block ×3, first 2 shown]
	v_lshlrev_b64 v[5:6], 4, v[5:6]
	v_add3_u32 v41, 0, v61, v59
	v_lshlrev_b64 v[7:8], 4, v[7:8]
	v_lshlrev_b64 v[9:10], 4, v[11:12]
	v_mad_u64_u32 v[11:12], null, s9, v54, v[1:2]
	v_mov_b32_e32 v1, v20
	v_add_co_u32 v5, vcc_lo, v39, v5
	v_add_co_ci_u32_e32 v6, vcc_lo, v40, v6, vcc_lo
	v_mad_u64_u32 v[23:24], null, s9, v53, v[1:2]
	v_mad_u64_u32 v[24:25], null, s8, v50, 0
	v_mov_b32_e32 v18, v11
	v_add_co_u32 v12, vcc_lo, v39, v7
	v_add_co_ci_u32_e32 v13, vcc_lo, v40, v8, vcc_lo
	v_mov_b32_e32 v20, v23
	v_mov_b32_e32 v23, v25
	v_lshlrev_b64 v[17:18], 4, v[17:18]
	v_add_co_u32 v14, vcc_lo, v39, v9
	v_lshlrev_b64 v[19:20], 4, v[19:20]
	v_mad_u64_u32 v[25:26], null, s9, v52, v[22:23]
	v_mad_u64_u32 v[26:27], null, s8, v51, 0
	;; [unrolled: 1-line block ×4, first 2 shown]
	v_add_co_ci_u32_e32 v15, vcc_lo, v40, v10, vcc_lo
	v_mov_b32_e32 v23, v27
	v_add_co_u32 v17, vcc_lo, v39, v17
	v_mov_b32_e32 v22, v25
	v_mov_b32_e32 v25, v28
	v_mad_u64_u32 v[27:28], null, s9, v51, v[23:24]
	v_mov_b32_e32 v23, v30
	v_add_co_ci_u32_e32 v18, vcc_lo, v40, v18, vcc_lo
	v_add_co_u32 v31, vcc_lo, v39, v19
	v_add_co_ci_u32_e32 v32, vcc_lo, v40, v20, vcc_lo
	v_lshlrev_b64 v[19:20], 4, v[21:22]
	v_mad_u64_u32 v[21:22], null, s9, v49, v[23:24]
	v_lshlrev_b64 v[22:23], 4, v[24:25]
	s_clause 0x3
	global_load_dwordx4 v[1:4], v[2:3], off
	global_load_dwordx4 v[5:8], v[5:6], off
	;; [unrolled: 1-line block ×4, first 2 shown]
	v_add_co_u32 v33, vcc_lo, v39, v19
	v_add_co_ci_u32_e32 v34, vcc_lo, v40, v20, vcc_lo
	v_mov_b32_e32 v30, v21
	v_lshlrev_b64 v[19:20], 4, v[26:27]
	v_add_co_u32 v35, vcc_lo, v39, v22
	v_add_co_ci_u32_e32 v36, vcc_lo, v40, v23, vcc_lo
	v_lshlrev_b64 v[21:22], 4, v[29:30]
	v_add_co_u32 v37, vcc_lo, v39, v19
	v_add_co_ci_u32_e32 v38, vcc_lo, v40, v20, vcc_lo
	v_add_co_u32 v39, vcc_lo, v39, v21
	v_add_co_ci_u32_e32 v40, vcc_lo, v40, v22, vcc_lo
	s_clause 0x5
	global_load_dwordx4 v[17:20], v[17:18], off
	global_load_dwordx4 v[21:24], v[31:32], off
	;; [unrolled: 1-line block ×6, first 2 shown]
	s_waitcnt vmcnt(9)
	ds_write_b128 v41, v[1:4]
	s_waitcnt vmcnt(8)
	ds_write_b128 v41, v[5:8] offset:256
	s_waitcnt vmcnt(7)
	ds_write_b128 v41, v[9:12] offset:512
	;; [unrolled: 2-line block ×9, first 2 shown]
.LBB0_14:
	s_or_b32 exec_lo, exec_lo, s0
	s_add_u32 s0, 0, 0x55540000
	s_addc_u32 s1, 0, 0x55
	s_mul_hi_u32 s7, s0, -12
	s_add_i32 s1, s1, 0x15555500
	s_sub_i32 s7, s7, s0
	s_mul_i32 s14, s1, -12
	s_mul_i32 s6, s0, -12
	s_add_i32 s7, s7, s14
	s_mul_hi_u32 s15, s1, s6
	s_mul_i32 s14, s1, s6
	s_mul_i32 s16, s0, s7
	s_mul_hi_u32 s6, s0, s6
	s_mul_hi_u32 s17, s0, s7
	s_add_u32 s6, s6, s16
	s_addc_u32 s16, 0, s17
	s_mul_hi_u32 s17, s1, s7
	s_add_u32 s6, s6, s14
	s_addc_u32 s6, s16, s15
	s_mul_i32 s7, s1, s7
	v_lshrrev_b32_e32 v1, 4, v0
	s_addc_u32 s14, s17, 0
	s_add_u32 s6, s6, s7
	v_and_b32_e32 v63, 15, v0
	v_add_co_u32 v3, s0, s0, s6
	s_addc_u32 s6, 0, s14
	s_cmp_lg_u32 s0, 0
	v_add_co_u32 v5, s0, s34, v1
	v_add_co_ci_u32_e64 v6, null, s33, 0, s0
	s_addc_u32 s0, s1, s6
	v_mul_hi_u32 v7, v5, v3
	v_mad_u64_u32 v[1:2], null, v5, s0, 0
	v_mad_u64_u32 v[3:4], null, v6, v3, 0
	s_waitcnt lgkmcnt(0)
	s_barrier
	buffer_gl0_inv
	v_add_co_u32 v7, vcc_lo, v7, v1
	v_add_co_ci_u32_e32 v8, vcc_lo, 0, v2, vcc_lo
	v_mad_u64_u32 v[1:2], null, v6, s0, 0
	v_add_co_u32 v3, vcc_lo, v7, v3
	v_add_co_ci_u32_e32 v3, vcc_lo, v8, v4, vcc_lo
	v_add_co_ci_u32_e32 v2, vcc_lo, 0, v2, vcc_lo
	v_add_co_u32 v1, vcc_lo, v3, v1
	v_add_co_ci_u32_e32 v3, vcc_lo, 0, v2, vcc_lo
	v_mad_u64_u32 v[1:2], null, v1, 12, 0
	v_mad_u64_u32 v[2:3], null, v3, 12, v[2:3]
	v_sub_co_u32 v1, vcc_lo, v5, v1
	v_sub_co_ci_u32_e32 v2, vcc_lo, v6, v2, vcc_lo
	v_sub_co_u32 v3, vcc_lo, v1, 12
	v_subrev_co_ci_u32_e32 v4, vcc_lo, 0, v2, vcc_lo
	v_cmp_lt_u32_e32 vcc_lo, 11, v3
	v_cndmask_b32_e64 v5, 0, -1, vcc_lo
	v_cmp_lt_u32_e32 vcc_lo, 11, v1
	v_cndmask_b32_e64 v6, 0, -1, vcc_lo
	v_cmp_eq_u32_e32 vcc_lo, 0, v4
	v_cndmask_b32_e32 v4, -1, v5, vcc_lo
	v_cmp_eq_u32_e32 vcc_lo, 0, v2
	v_add_nc_u32_e32 v5, -12, v3
	v_cndmask_b32_e32 v2, -1, v6, vcc_lo
	v_cmp_ne_u32_e32 vcc_lo, 0, v4
	v_cndmask_b32_e32 v3, v3, v5, vcc_lo
	v_cmp_ne_u32_e32 vcc_lo, 0, v2
	v_cndmask_b32_e32 v1, v1, v3, vcc_lo
	v_cmp_gt_u32_e32 vcc_lo, 8, v63
	v_mul_u32_u24_e32 v64, 0xa0, v1
	v_lshlrev_b32_e32 v1, 4, v63
	v_lshlrev_b32_e32 v18, 4, v64
	v_add_nc_u32_e32 v65, 0, v1
	v_add_nc_u32_e32 v90, 0, v18
	;; [unrolled: 1-line block ×4, first 2 shown]
	ds_read_b128 v[1:4], v62 offset:640
	ds_read_b128 v[5:8], v62 offset:1920
	;; [unrolled: 1-line block ×4, first 2 shown]
	ds_read_b128 v[23:26], v17
	ds_read_b128 v[27:30], v62 offset:1280
	ds_read_b128 v[31:34], v62 offset:1536
	;; [unrolled: 1-line block ×7, first 2 shown]
	s_waitcnt lgkmcnt(0)
	s_barrier
	buffer_gl0_inv
	v_add_f64 v[5:6], v[1:2], -v[5:6]
	v_add_f64 v[7:8], v[3:4], -v[7:8]
	;; [unrolled: 1-line block ×10, first 2 shown]
	v_fma_f64 v[1:2], v[1:2], 2.0, -v[5:6]
	v_fma_f64 v[3:4], v[3:4], 2.0, -v[7:8]
	;; [unrolled: 1-line block ×3, first 2 shown]
	v_add_f64 v[13:14], v[41:42], -v[68:69]
	v_fma_f64 v[66:67], v[23:24], 2.0, -v[74:75]
	v_fma_f64 v[82:83], v[25:26], 2.0, -v[76:77]
	;; [unrolled: 1-line block ×3, first 2 shown]
	v_add_f64 v[35:36], v[45:46], -v[72:73]
	v_fma_f64 v[31:32], v[11:12], 2.0, -v[15:16]
	v_fma_f64 v[86:87], v[37:38], 2.0, -v[80:81]
	;; [unrolled: 1-line block ×3, first 2 shown]
	v_add_f64 v[19:20], v[74:75], v[7:8]
	v_add_f64 v[21:22], v[76:77], -v[5:6]
	v_add_f64 v[25:26], v[80:81], -v[15:16]
	v_fma_f64 v[5:6], v[43:44], 2.0, -v[88:89]
	v_add_f64 v[23:24], v[78:79], v[47:48]
	v_mad_u32_u24 v47, v63, 48, v62
	v_lshl_add_u32 v48, v63, 6, v90
	v_fma_f64 v[15:16], v[41:42], 2.0, -v[13:14]
	v_add_f64 v[27:28], v[66:67], -v[1:2]
	v_add_f64 v[29:30], v[82:83], -v[3:4]
	;; [unrolled: 1-line block ×3, first 2 shown]
	v_fma_f64 v[7:8], v[45:46], 2.0, -v[35:36]
	v_add_f64 v[31:32], v[84:85], -v[31:32]
	v_add_f64 v[33:34], v[86:87], -v[33:34]
	v_add_f64 v[1:2], v[9:10], v[35:36]
	v_fma_f64 v[35:36], v[74:75], 2.0, -v[19:20]
	v_fma_f64 v[37:38], v[76:77], 2.0, -v[21:22]
	;; [unrolled: 1-line block ×3, first 2 shown]
	v_add_f64 v[5:6], v[11:12], -v[5:6]
	v_fma_f64 v[39:40], v[78:79], 2.0, -v[23:24]
	v_fma_f64 v[43:44], v[66:67], 2.0, -v[27:28]
	;; [unrolled: 1-line block ×3, first 2 shown]
	v_or_b32_e32 v66, 32, v63
	v_add_f64 v[7:8], v[15:16], -v[7:8]
	v_fma_f64 v[67:68], v[84:85], 2.0, -v[31:32]
	v_fma_f64 v[69:70], v[86:87], 2.0, -v[33:34]
	ds_write_b128 v47, v[19:22] offset:48
	ds_write_b128 v47, v[35:38] offset:16
	ds_write_b128 v47, v[27:30] offset:32
	ds_write_b128 v47, v[43:46]
	ds_write_b128 v48, v[67:70] offset:1024
	ds_write_b128 v48, v[39:42] offset:1040
	;; [unrolled: 1-line block ×4, first 2 shown]
	s_and_saveexec_b32 s0, vcc_lo
	s_cbranch_execz .LBB0_16
; %bb.15:
	v_fma_f64 v[21:22], v[15:16], 2.0, -v[7:8]
	v_fma_f64 v[19:20], v[11:12], 2.0, -v[5:6]
	;; [unrolled: 1-line block ×4, first 2 shown]
	v_lshlrev_b32_e32 v9, 6, v66
	v_add3_u32 v9, 0, v9, v18
	ds_write_b128 v9, v[5:8] offset:32
	ds_write_b128 v9, v[19:22]
	ds_write_b128 v9, v[11:14] offset:16
	ds_write_b128 v9, v[1:4] offset:48
.LBB0_16:
	s_or_b32 exec_lo, exec_lo, s0
	v_and_b32_e32 v0, 3, v0
	s_waitcnt lgkmcnt(0)
	s_barrier
	buffer_gl0_inv
	s_mov_b32 s14, 0x134454ff
	v_mul_u32_u24_e32 v9, 9, v0
	s_mov_b32 s15, 0xbfee6f0e
	s_mov_b32 s1, 0x3fee6f0e
	s_mov_b32 s0, s14
	s_mov_b32 s22, 0x4755a5e
	v_lshlrev_b32_e32 v43, 4, v9
	s_mov_b32 s23, 0xbfe2cf23
	s_mov_b32 s7, 0x3fe2cf23
	;; [unrolled: 1-line block ×4, first 2 shown]
	s_clause 0x8
	global_load_dwordx4 v[9:12], v43, s[4:5] offset:16
	global_load_dwordx4 v[13:16], v43, s[4:5] offset:64
	;; [unrolled: 1-line block ×8, first 2 shown]
	global_load_dwordx4 v[43:46], v43, s[4:5]
	ds_read_b128 v[67:70], v62 offset:512
	ds_read_b128 v[71:74], v62 offset:1280
	;; [unrolled: 1-line block ×9, first 2 shown]
	ds_read_b128 v[103:106], v17
	s_mov_b32 s17, 0x3fd3c6ef
	s_mov_b32 s18, 0x9b97f4a8
	;; [unrolled: 1-line block ×7, first 2 shown]
	s_waitcnt vmcnt(0) lgkmcnt(0)
	s_barrier
	buffer_gl0_inv
	v_mul_f64 v[47:48], v[69:70], v[11:12]
	v_mul_f64 v[11:12], v[67:68], v[11:12]
	;; [unrolled: 1-line block ×13, first 2 shown]
	v_fma_f64 v[47:48], v[67:68], v[9:10], v[47:48]
	v_fma_f64 v[9:10], v[69:70], v[9:10], -v[11:12]
	v_mul_f64 v[11:12], v[73:74], v[15:16]
	v_mul_f64 v[15:16], v[77:78], v[21:22]
	;; [unrolled: 1-line block ×4, first 2 shown]
	v_fma_f64 v[67:68], v[73:74], v[13:14], -v[107:108]
	v_fma_f64 v[69:70], v[77:78], v[19:20], -v[109:110]
	;; [unrolled: 1-line block ×4, first 2 shown]
	v_fma_f64 v[81:82], v[87:88], v[31:32], v[115:116]
	v_fma_f64 v[31:32], v[89:90], v[31:32], -v[33:34]
	v_mul_f64 v[33:34], v[101:102], v[45:46]
	v_fma_f64 v[23:24], v[79:80], v[23:24], v[25:26]
	v_fma_f64 v[45:46], v[91:92], v[35:36], v[117:118]
	;; [unrolled: 1-line block ×3, first 2 shown]
	v_fma_f64 v[35:36], v[93:94], v[35:36], -v[37:38]
	v_fma_f64 v[37:38], v[97:98], v[39:40], -v[41:42]
	v_add_f64 v[107:108], v[105:106], v[9:10]
	v_fma_f64 v[11:12], v[71:72], v[13:14], v[11:12]
	v_fma_f64 v[13:14], v[75:76], v[19:20], v[15:16]
	;; [unrolled: 1-line block ×3, first 2 shown]
	v_fma_f64 v[19:20], v[101:102], v[43:44], -v[29:30]
	v_add_f64 v[101:102], v[103:104], v[47:48]
	v_add_f64 v[21:22], v[67:68], v[69:70]
	v_add_f64 v[109:110], v[73:74], -v[67:68]
	v_add_f64 v[25:26], v[73:74], v[77:78]
	v_add_f64 v[89:90], v[81:82], -v[47:48]
	v_add_f64 v[111:112], v[77:78], -v[69:70]
	v_fma_f64 v[27:28], v[99:100], v[43:44], v[33:34]
	v_add_f64 v[43:44], v[47:48], -v[81:82]
	v_add_f64 v[29:30], v[81:82], v[45:46]
	v_add_f64 v[33:34], v[47:48], v[85:86]
	;; [unrolled: 1-line block ×4, first 2 shown]
	v_add_f64 v[71:72], v[85:86], -v[45:46]
	v_add_f64 v[91:92], v[45:46], -v[85:86]
	;; [unrolled: 1-line block ×7, first 2 shown]
	v_add_f64 v[75:76], v[11:12], v[13:14]
	v_add_f64 v[79:80], v[23:24], -v[15:16]
	v_add_f64 v[83:84], v[23:24], v[15:16]
	v_add_f64 v[87:88], v[11:12], -v[13:14]
	v_fma_f64 v[21:22], v[21:22], -0.5, v[19:20]
	v_add_f64 v[97:98], v[11:12], -v[23:24]
	v_fma_f64 v[25:26], v[25:26], -0.5, v[19:20]
	v_add_f64 v[19:20], v[19:20], v[73:74]
	v_add_f64 v[73:74], v[73:74], -v[77:78]
	v_add_f64 v[23:24], v[27:28], v[23:24]
	v_add_f64 v[95:96], v[15:16], -v[13:14]
	v_add_f64 v[99:100], v[13:14], -v[15:16]
	v_add_f64 v[125:126], v[31:32], -v[35:36]
	v_add_f64 v[47:48], v[47:48], -v[85:86]
	v_add_f64 v[127:128], v[81:82], -v[45:46]
	v_fma_f64 v[29:30], v[29:30], -0.5, v[103:104]
	v_fma_f64 v[33:34], v[33:34], -0.5, v[103:104]
	;; [unrolled: 1-line block ×4, first 2 shown]
	v_add_f64 v[43:44], v[43:44], v[71:72]
	v_add_f64 v[71:72], v[89:90], v[91:92]
	;; [unrolled: 1-line block ×3, first 2 shown]
	v_fma_f64 v[75:76], v[75:76], -0.5, v[27:28]
	v_add_f64 v[91:92], v[113:114], v[115:116]
	v_fma_f64 v[27:28], v[83:84], -0.5, v[27:28]
	v_add_f64 v[83:84], v[31:32], -v[9:10]
	v_fma_f64 v[121:122], v[79:80], s[0:1], v[21:22]
	v_fma_f64 v[21:22], v[79:80], s[14:15], v[21:22]
	;; [unrolled: 1-line block ×4, first 2 shown]
	v_add_f64 v[9:10], v[9:10], -v[37:38]
	v_add_f64 v[81:82], v[101:102], v[81:82]
	v_add_f64 v[31:32], v[107:108], v[31:32]
	;; [unrolled: 1-line block ×4, first 2 shown]
	v_add_f64 v[129:130], v[37:38], -v[35:36]
	v_add_f64 v[103:104], v[35:36], -v[37:38]
	v_fma_f64 v[67:68], v[125:126], s[0:1], v[33:34]
	v_fma_f64 v[33:34], v[125:126], s[14:15], v[33:34]
	;; [unrolled: 1-line block ×10, first 2 shown]
	v_add_f64 v[79:80], v[93:94], v[95:96]
	v_add_f64 v[87:88], v[97:98], v[99:100]
	v_fma_f64 v[23:24], v[9:10], s[14:15], v[29:30]
	v_fma_f64 v[29:30], v[9:10], s[0:1], v[29:30]
	;; [unrolled: 1-line block ×6, first 2 shown]
	v_add_f64 v[45:46], v[81:82], v[45:46]
	v_add_f64 v[31:32], v[31:32], v[35:36]
	;; [unrolled: 1-line block ×5, first 2 shown]
	v_fma_f64 v[97:98], v[117:118], s[22:23], v[105:106]
	v_fma_f64 v[75:76], v[117:118], s[6:7], v[75:76]
	;; [unrolled: 1-line block ×8, first 2 shown]
	v_add_f64 v[89:90], v[119:120], v[129:130]
	v_fma_f64 v[19:20], v[125:126], s[22:23], v[23:24]
	v_fma_f64 v[23:24], v[125:126], s[6:7], v[29:30]
	;; [unrolled: 1-line block ×8, first 2 shown]
	v_add_f64 v[45:46], v[45:46], v[85:86]
	v_add_f64 v[31:32], v[31:32], v[37:38]
	v_add_f64 v[11:12], v[11:12], v[15:16]
	v_add_f64 v[13:14], v[13:14], v[77:78]
	v_fma_f64 v[47:48], v[79:80], s[16:17], v[97:98]
	v_fma_f64 v[67:68], v[79:80], s[16:17], v[75:76]
	;; [unrolled: 1-line block ×4, first 2 shown]
	v_mul_f64 v[75:76], v[73:74], s[22:23]
	v_mul_f64 v[73:74], v[73:74], s[18:19]
	v_mul_f64 v[79:80], v[101:102], s[14:15]
	v_mul_f64 v[91:92], v[101:102], s[16:17]
	v_mul_f64 v[81:82], v[25:26], s[14:15]
	v_mul_f64 v[25:26], v[25:26], s[20:21]
	v_mul_f64 v[87:88], v[21:22], s[22:23]
	v_mul_f64 v[21:22], v[21:22], s[24:25]
	v_fma_f64 v[15:16], v[43:44], s[16:17], v[19:20]
	v_fma_f64 v[77:78], v[43:44], s[16:17], v[23:24]
	;; [unrolled: 1-line block ×8, first 2 shown]
	v_lshrrev_b32_e32 v95, 2, v63
	v_add_f64 v[23:24], v[45:46], -v[11:12]
	v_mul_u32_u24_e32 v19, 40, v95
	v_fma_f64 v[43:44], v[47:48], s[18:19], v[75:76]
	v_fma_f64 v[47:48], v[47:48], s[6:7], v[73:74]
	;; [unrolled: 1-line block ×8, first 2 shown]
	v_or_b32_e32 v0, v19, v0
	v_add_f64 v[19:20], v[45:46], v[11:12]
	v_add_f64 v[21:22], v[31:32], v[13:14]
	v_add_f64 v[25:26], v[31:32], -v[13:14]
	v_lshlrev_b32_e32 v0, 4, v0
	v_add3_u32 v0, 0, v0, v18
	v_add_f64 v[27:28], v[15:16], v[43:44]
	v_add_f64 v[29:30], v[71:72], v[47:48]
	;; [unrolled: 1-line block ×8, first 2 shown]
	v_add_f64 v[43:44], v[15:16], -v[43:44]
	v_add_f64 v[45:46], v[71:72], -v[47:48]
	;; [unrolled: 1-line block ×8, first 2 shown]
	ds_write_b128 v0, v[19:22]
	ds_write_b128 v0, v[23:26] offset:320
	ds_write_b128 v0, v[27:30] offset:64
	;; [unrolled: 1-line block ×9, first 2 shown]
	s_waitcnt lgkmcnt(0)
	s_barrier
	buffer_gl0_inv
	ds_read_b128 v[17:20], v17
	ds_read_b128 v[21:24], v62 offset:256
	ds_read_b128 v[37:40], v62 offset:640
	;; [unrolled: 1-line block ×7, first 2 shown]
	s_and_saveexec_b32 s0, vcc_lo
	s_cbranch_execz .LBB0_18
; %bb.17:
	ds_read_b128 v[9:12], v62 offset:512
	ds_read_b128 v[13:16], v62 offset:1152
	;; [unrolled: 1-line block ×4, first 2 shown]
.LBB0_18:
	s_or_b32 exec_lo, exec_lo, s0
	v_mul_u32_u24_e32 v0, 3, v63
	v_cmp_gt_u32_e64 s0, 40, v66
	v_lshlrev_b32_e32 v0, 4, v0
	s_clause 0x5
	global_load_dwordx4 v[67:70], v0, s[4:5] offset:576
	global_load_dwordx4 v[71:74], v0, s[4:5] offset:592
	;; [unrolled: 1-line block ×6, first 2 shown]
	v_lshl_add_u32 v0, v64, 4, v65
	s_waitcnt vmcnt(0) lgkmcnt(0)
	s_barrier
	buffer_gl0_inv
	v_mul_f64 v[91:92], v[39:40], v[69:70]
	v_mul_f64 v[69:70], v[37:38], v[69:70]
	;; [unrolled: 1-line block ×12, first 2 shown]
	v_fma_f64 v[37:38], v[37:38], v[67:68], v[91:92]
	v_fma_f64 v[39:40], v[39:40], v[67:68], -v[69:70]
	v_fma_f64 v[41:42], v[41:42], v[71:72], v[93:94]
	v_fma_f64 v[43:44], v[43:44], v[71:72], -v[73:74]
	v_fma_f64 v[45:46], v[45:46], v[75:76], v[95:96]
	v_fma_f64 v[47:48], v[47:48], v[75:76], -v[77:78]
	v_fma_f64 v[25:26], v[25:26], v[79:80], v[97:98]
	v_fma_f64 v[27:28], v[27:28], v[79:80], -v[81:82]
	v_fma_f64 v[29:30], v[29:30], v[83:84], v[99:100]
	v_fma_f64 v[31:32], v[31:32], v[83:84], -v[85:86]
	v_fma_f64 v[33:34], v[33:34], v[87:88], v[101:102]
	v_fma_f64 v[35:36], v[35:36], v[87:88], -v[89:90]
	v_add_f64 v[41:42], v[17:18], -v[41:42]
	v_add_f64 v[43:44], v[19:20], -v[43:44]
	;; [unrolled: 1-line block ×8, first 2 shown]
	v_fma_f64 v[71:72], v[17:18], 2.0, -v[41:42]
	v_fma_f64 v[73:74], v[19:20], 2.0, -v[43:44]
	;; [unrolled: 1-line block ×4, first 2 shown]
	v_add_f64 v[17:18], v[41:42], v[47:48]
	v_add_f64 v[19:20], v[43:44], -v[45:46]
	v_fma_f64 v[75:76], v[21:22], 2.0, -v[67:68]
	v_fma_f64 v[77:78], v[23:24], 2.0, -v[69:70]
	;; [unrolled: 1-line block ×4, first 2 shown]
	v_add_f64 v[21:22], v[67:68], v[31:32]
	v_add_f64 v[23:24], v[69:70], -v[29:30]
	v_add_f64 v[25:26], v[71:72], -v[33:34]
	;; [unrolled: 1-line block ×3, first 2 shown]
	v_fma_f64 v[33:34], v[41:42], 2.0, -v[17:18]
	v_fma_f64 v[35:36], v[43:44], 2.0, -v[19:20]
	v_add_f64 v[29:30], v[75:76], -v[37:38]
	v_add_f64 v[31:32], v[77:78], -v[39:40]
	v_fma_f64 v[37:38], v[67:68], 2.0, -v[21:22]
	v_fma_f64 v[39:40], v[69:70], 2.0, -v[23:24]
	;; [unrolled: 1-line block ×6, first 2 shown]
	ds_write_b128 v62, v[17:20] offset:1920
	ds_write_b128 v62, v[33:36] offset:640
	ds_write_b128 v62, v[25:28] offset:1280
	ds_write_b128 v0, v[37:40] offset:896
	ds_write_b128 v0, v[29:32] offset:1536
	ds_write_b128 v62, v[41:44]
	ds_write_b128 v62, v[45:48] offset:256
	ds_write_b128 v0, v[21:24] offset:2176
	s_and_saveexec_b32 s1, vcc_lo
	s_cbranch_execz .LBB0_20
; %bb.19:
	v_add_nc_u32_e32 v0, -8, v63
	v_mov_b32_e32 v18, 0
	v_cndmask_b32_e64 v0, v0, v66, s0
	v_mul_i32_i24_e32 v17, 3, v0
	v_lshlrev_b64 v[17:18], 4, v[17:18]
	v_add_co_u32 v25, vcc_lo, s4, v17
	v_add_co_ci_u32_e32 v26, vcc_lo, s5, v18, vcc_lo
	s_clause 0x2
	global_load_dwordx4 v[17:20], v[25:26], off offset:592
	global_load_dwordx4 v[21:24], v[25:26], off offset:576
	;; [unrolled: 1-line block ×3, first 2 shown]
	s_waitcnt vmcnt(2)
	v_mul_f64 v[29:30], v[5:6], v[19:20]
	s_waitcnt vmcnt(1)
	v_mul_f64 v[31:32], v[15:16], v[23:24]
	v_mul_f64 v[23:24], v[13:14], v[23:24]
	s_waitcnt vmcnt(0)
	v_mul_f64 v[33:34], v[1:2], v[27:28]
	v_mul_f64 v[19:20], v[7:8], v[19:20]
	;; [unrolled: 1-line block ×3, first 2 shown]
	v_fma_f64 v[7:8], v[7:8], v[17:18], -v[29:30]
	v_fma_f64 v[13:14], v[13:14], v[21:22], v[31:32]
	v_fma_f64 v[15:16], v[15:16], v[21:22], -v[23:24]
	v_fma_f64 v[3:4], v[3:4], v[25:26], -v[33:34]
	v_fma_f64 v[5:6], v[5:6], v[17:18], v[19:20]
	v_fma_f64 v[0:1], v[1:2], v[25:26], v[27:28]
	v_add_f64 v[17:18], v[11:12], -v[7:8]
	v_add_f64 v[7:8], v[15:16], -v[3:4]
	;; [unrolled: 1-line block ×4, first 2 shown]
	v_fma_f64 v[21:22], v[11:12], 2.0, -v[17:18]
	v_fma_f64 v[4:5], v[15:16], 2.0, -v[7:8]
	;; [unrolled: 1-line block ×4, first 2 shown]
	v_add_f64 v[2:3], v[17:18], -v[0:1]
	v_add_f64 v[0:1], v[19:20], v[7:8]
	v_add_f64 v[6:7], v[21:22], -v[4:5]
	v_add_f64 v[4:5], v[23:24], -v[9:10]
	v_fma_f64 v[10:11], v[17:18], 2.0, -v[2:3]
	v_fma_f64 v[8:9], v[19:20], 2.0, -v[0:1]
	;; [unrolled: 1-line block ×4, first 2 shown]
	ds_write_b128 v62, v[8:11] offset:1152
	ds_write_b128 v62, v[4:7] offset:1792
	;; [unrolled: 1-line block ×4, first 2 shown]
.LBB0_20:
	s_or_b32 exec_lo, exec_lo, s1
	s_waitcnt lgkmcnt(0)
	s_barrier
	buffer_gl0_inv
	s_and_saveexec_b32 s0, s26
	s_cbranch_execz .LBB0_22
; %bb.21:
	v_mad_u64_u32 v[8:9], null, s8, v57, 0
	v_mad_u64_u32 v[0:1], null, s10, v60, 0
	;; [unrolled: 1-line block ×3, first 2 shown]
	s_lshl_b64 s[0:1], s[2:3], 4
	v_add3_u32 v26, 0, v61, v59
	v_mov_b32_e32 v2, v9
	s_add_u32 s0, s12, s0
	s_addc_u32 s1, s13, s1
	v_mad_u64_u32 v[21:22], null, s8, v54, 0
	v_mad_u64_u32 v[3:4], null, s11, v60, v[1:2]
	v_mov_b32_e32 v1, v11
	v_mad_u64_u32 v[11:12], null, s9, v58, v[1:2]
	v_mov_b32_e32 v1, v3
	v_mad_u64_u32 v[4:5], null, s9, v57, v[2:3]
	v_mad_u64_u32 v[12:13], null, s8, v56, 0
	v_lshlrev_b64 v[14:15], 4, v[0:1]
	v_lshlrev_b64 v[10:11], 4, v[10:11]
	v_mov_b32_e32 v9, v4
	ds_read_b128 v[0:3], v26
	ds_read_b128 v[4:7], v26 offset:256
	v_add_co_u32 v27, vcc_lo, s0, v14
	v_add_co_ci_u32_e32 v28, vcc_lo, s1, v15, vcc_lo
	v_mad_u64_u32 v[14:15], null, s8, v55, 0
	v_lshlrev_b64 v[8:9], 4, v[8:9]
	v_mad_u64_u32 v[16:17], null, s9, v56, v[13:14]
	v_add_co_u32 v17, vcc_lo, v27, v8
	v_mov_b32_e32 v8, v15
	v_add_co_ci_u32_e32 v18, vcc_lo, v28, v9, vcc_lo
	v_add_co_u32 v19, vcc_lo, v27, v10
	v_add_co_ci_u32_e32 v20, vcc_lo, v28, v11, vcc_lo
	v_mov_b32_e32 v13, v16
	v_mad_u64_u32 v[15:16], null, s9, v55, v[8:9]
	ds_read_b128 v[8:11], v26 offset:512
	s_waitcnt lgkmcnt(2)
	global_store_dwordx4 v[17:18], v[0:3], off
	s_waitcnt lgkmcnt(1)
	global_store_dwordx4 v[19:20], v[4:7], off
	v_lshlrev_b64 v[4:5], 4, v[12:13]
	ds_read_b128 v[0:3], v26 offset:768
	v_mad_u64_u32 v[12:13], null, s8, v53, 0
	v_mov_b32_e32 v6, v22
	v_lshlrev_b64 v[14:15], 4, v[14:15]
	v_add_co_u32 v4, vcc_lo, v27, v4
	v_add_co_ci_u32_e32 v5, vcc_lo, v28, v5, vcc_lo
	v_mad_u64_u32 v[6:7], null, s9, v54, v[6:7]
	v_add_co_u32 v7, vcc_lo, v27, v14
	v_mad_u64_u32 v[16:17], null, s8, v50, 0
	v_mad_u64_u32 v[18:19], null, s8, v51, 0
	s_waitcnt lgkmcnt(1)
	global_store_dwordx4 v[4:5], v[8:11], off
	v_mov_b32_e32 v4, v13
	v_add_co_ci_u32_e32 v8, vcc_lo, v28, v15, vcc_lo
	v_mov_b32_e32 v22, v6
	v_mad_u64_u32 v[9:10], null, s9, v53, v[4:5]
	v_mad_u64_u32 v[10:11], null, s8, v52, 0
	s_waitcnt lgkmcnt(0)
	global_store_dwordx4 v[7:8], v[0:3], off
	ds_read_b128 v[0:3], v26 offset:1024
	ds_read_b128 v[4:7], v26 offset:1280
	v_lshlrev_b64 v[14:15], 4, v[21:22]
	v_mad_u64_u32 v[20:21], null, s8, v49, 0
	v_mov_b32_e32 v13, v9
	v_mov_b32_e32 v8, v11
	v_add_co_u32 v14, vcc_lo, v27, v14
	v_lshlrev_b64 v[11:12], 4, v[12:13]
	v_mad_u64_u32 v[8:9], null, s9, v52, v[8:9]
	v_add_co_ci_u32_e32 v15, vcc_lo, v28, v15, vcc_lo
	v_add_co_u32 v11, vcc_lo, v27, v11
	v_add_co_ci_u32_e32 v12, vcc_lo, v28, v12, vcc_lo
	s_waitcnt lgkmcnt(1)
	global_store_dwordx4 v[14:15], v[0:3], off
	s_waitcnt lgkmcnt(0)
	global_store_dwordx4 v[11:12], v[4:7], off
	v_mov_b32_e32 v11, v8
	v_mov_b32_e32 v0, v17
	;; [unrolled: 1-line block ×3, first 2 shown]
	v_lshlrev_b64 v[2:3], 4, v[10:11]
	v_mad_u64_u32 v[4:5], null, s9, v50, v[0:1]
	v_mad_u64_u32 v[0:1], null, s9, v51, v[1:2]
	v_mov_b32_e32 v1, v21
	v_add_co_u32 v22, vcc_lo, v27, v2
	v_mov_b32_e32 v17, v4
	v_add_co_ci_u32_e32 v23, vcc_lo, v28, v3, vcc_lo
	v_mad_u64_u32 v[24:25], null, s9, v49, v[1:2]
	v_mov_b32_e32 v19, v0
	ds_read_b128 v[0:3], v26 offset:1536
	ds_read_b128 v[4:7], v26 offset:1792
	;; [unrolled: 1-line block ×4, first 2 shown]
	v_lshlrev_b64 v[16:17], 4, v[16:17]
	v_lshlrev_b64 v[18:19], 4, v[18:19]
	v_mov_b32_e32 v21, v24
	v_add_co_u32 v16, vcc_lo, v27, v16
	v_lshlrev_b64 v[20:21], 4, v[20:21]
	v_add_co_ci_u32_e32 v17, vcc_lo, v28, v17, vcc_lo
	v_add_co_u32 v18, vcc_lo, v27, v18
	v_add_co_ci_u32_e32 v19, vcc_lo, v28, v19, vcc_lo
	v_add_co_u32 v20, vcc_lo, v27, v20
	v_add_co_ci_u32_e32 v21, vcc_lo, v28, v21, vcc_lo
	s_waitcnt lgkmcnt(3)
	global_store_dwordx4 v[22:23], v[0:3], off
	s_waitcnt lgkmcnt(2)
	global_store_dwordx4 v[16:17], v[4:7], off
	;; [unrolled: 2-line block ×4, first 2 shown]
.LBB0_22:
	s_endpgm
	.section	.rodata,"a",@progbits
	.p2align	6, 0x0
	.amdhsa_kernel fft_rtc_back_len160_factors_4_10_4_wgs_192_tpt_16_dp_ip_CI_sbcc
		.amdhsa_group_segment_fixed_size 0
		.amdhsa_private_segment_fixed_size 0
		.amdhsa_kernarg_size 96
		.amdhsa_user_sgpr_count 6
		.amdhsa_user_sgpr_private_segment_buffer 1
		.amdhsa_user_sgpr_dispatch_ptr 0
		.amdhsa_user_sgpr_queue_ptr 0
		.amdhsa_user_sgpr_kernarg_segment_ptr 1
		.amdhsa_user_sgpr_dispatch_id 0
		.amdhsa_user_sgpr_flat_scratch_init 0
		.amdhsa_user_sgpr_private_segment_size 0
		.amdhsa_wavefront_size32 1
		.amdhsa_uses_dynamic_stack 0
		.amdhsa_system_sgpr_private_segment_wavefront_offset 0
		.amdhsa_system_sgpr_workgroup_id_x 1
		.amdhsa_system_sgpr_workgroup_id_y 0
		.amdhsa_system_sgpr_workgroup_id_z 0
		.amdhsa_system_sgpr_workgroup_info 0
		.amdhsa_system_vgpr_workitem_id 0
		.amdhsa_next_free_vgpr 131
		.amdhsa_next_free_sgpr 44
		.amdhsa_reserve_vcc 1
		.amdhsa_reserve_flat_scratch 0
		.amdhsa_float_round_mode_32 0
		.amdhsa_float_round_mode_16_64 0
		.amdhsa_float_denorm_mode_32 3
		.amdhsa_float_denorm_mode_16_64 3
		.amdhsa_dx10_clamp 1
		.amdhsa_ieee_mode 1
		.amdhsa_fp16_overflow 0
		.amdhsa_workgroup_processor_mode 1
		.amdhsa_memory_ordered 1
		.amdhsa_forward_progress 0
		.amdhsa_shared_vgpr_count 0
		.amdhsa_exception_fp_ieee_invalid_op 0
		.amdhsa_exception_fp_denorm_src 0
		.amdhsa_exception_fp_ieee_div_zero 0
		.amdhsa_exception_fp_ieee_overflow 0
		.amdhsa_exception_fp_ieee_underflow 0
		.amdhsa_exception_fp_ieee_inexact 0
		.amdhsa_exception_int_div_zero 0
	.end_amdhsa_kernel
	.text
.Lfunc_end0:
	.size	fft_rtc_back_len160_factors_4_10_4_wgs_192_tpt_16_dp_ip_CI_sbcc, .Lfunc_end0-fft_rtc_back_len160_factors_4_10_4_wgs_192_tpt_16_dp_ip_CI_sbcc
                                        ; -- End function
	.section	.AMDGPU.csdata,"",@progbits
; Kernel info:
; codeLenInByte = 7052
; NumSgprs: 46
; NumVgprs: 131
; ScratchSize: 0
; MemoryBound: 0
; FloatMode: 240
; IeeeMode: 1
; LDSByteSize: 0 bytes/workgroup (compile time only)
; SGPRBlocks: 5
; VGPRBlocks: 16
; NumSGPRsForWavesPerEU: 46
; NumVGPRsForWavesPerEU: 131
; Occupancy: 7
; WaveLimiterHint : 1
; COMPUTE_PGM_RSRC2:SCRATCH_EN: 0
; COMPUTE_PGM_RSRC2:USER_SGPR: 6
; COMPUTE_PGM_RSRC2:TRAP_HANDLER: 0
; COMPUTE_PGM_RSRC2:TGID_X_EN: 1
; COMPUTE_PGM_RSRC2:TGID_Y_EN: 0
; COMPUTE_PGM_RSRC2:TGID_Z_EN: 0
; COMPUTE_PGM_RSRC2:TIDIG_COMP_CNT: 0
	.text
	.p2alignl 6, 3214868480
	.fill 48, 4, 3214868480
	.type	__hip_cuid_fa095af9f8e5bf4f,@object ; @__hip_cuid_fa095af9f8e5bf4f
	.section	.bss,"aw",@nobits
	.globl	__hip_cuid_fa095af9f8e5bf4f
__hip_cuid_fa095af9f8e5bf4f:
	.byte	0                               ; 0x0
	.size	__hip_cuid_fa095af9f8e5bf4f, 1

	.ident	"AMD clang version 19.0.0git (https://github.com/RadeonOpenCompute/llvm-project roc-6.4.0 25133 c7fe45cf4b819c5991fe208aaa96edf142730f1d)"
	.section	".note.GNU-stack","",@progbits
	.addrsig
	.addrsig_sym __hip_cuid_fa095af9f8e5bf4f
	.amdgpu_metadata
---
amdhsa.kernels:
  - .args:
      - .actual_access:  read_only
        .address_space:  global
        .offset:         0
        .size:           8
        .value_kind:     global_buffer
      - .address_space:  global
        .offset:         8
        .size:           8
        .value_kind:     global_buffer
      - .offset:         16
        .size:           8
        .value_kind:     by_value
      - .actual_access:  read_only
        .address_space:  global
        .offset:         24
        .size:           8
        .value_kind:     global_buffer
      - .actual_access:  read_only
        .address_space:  global
        .offset:         32
        .size:           8
        .value_kind:     global_buffer
      - .offset:         40
        .size:           8
        .value_kind:     by_value
      - .actual_access:  read_only
        .address_space:  global
        .offset:         48
        .size:           8
        .value_kind:     global_buffer
      - .actual_access:  read_only
        .address_space:  global
        .offset:         56
        .size:           8
        .value_kind:     global_buffer
      - .offset:         64
        .size:           4
        .value_kind:     by_value
      - .actual_access:  read_only
        .address_space:  global
        .offset:         72
        .size:           8
        .value_kind:     global_buffer
      - .actual_access:  read_only
        .address_space:  global
        .offset:         80
        .size:           8
        .value_kind:     global_buffer
      - .address_space:  global
        .offset:         88
        .size:           8
        .value_kind:     global_buffer
    .group_segment_fixed_size: 0
    .kernarg_segment_align: 8
    .kernarg_segment_size: 96
    .language:       OpenCL C
    .language_version:
      - 2
      - 0
    .max_flat_workgroup_size: 192
    .name:           fft_rtc_back_len160_factors_4_10_4_wgs_192_tpt_16_dp_ip_CI_sbcc
    .private_segment_fixed_size: 0
    .sgpr_count:     46
    .sgpr_spill_count: 0
    .symbol:         fft_rtc_back_len160_factors_4_10_4_wgs_192_tpt_16_dp_ip_CI_sbcc.kd
    .uniform_work_group_size: 1
    .uses_dynamic_stack: false
    .vgpr_count:     131
    .vgpr_spill_count: 0
    .wavefront_size: 32
    .workgroup_processor_mode: 1
amdhsa.target:   amdgcn-amd-amdhsa--gfx1030
amdhsa.version:
  - 1
  - 2
...

	.end_amdgpu_metadata
